;; amdgpu-corpus repo=ROCm/rocFFT kind=compiled arch=gfx1201 opt=O3
	.text
	.amdgcn_target "amdgcn-amd-amdhsa--gfx1201"
	.amdhsa_code_object_version 6
	.protected	fft_rtc_back_len160_factors_4_10_4_wgs_192_tpt_16_dp_ip_CI_sbcc_dirReg_intrinsicReadWrite ; -- Begin function fft_rtc_back_len160_factors_4_10_4_wgs_192_tpt_16_dp_ip_CI_sbcc_dirReg_intrinsicReadWrite
	.globl	fft_rtc_back_len160_factors_4_10_4_wgs_192_tpt_16_dp_ip_CI_sbcc_dirReg_intrinsicReadWrite
	.p2align	8
	.type	fft_rtc_back_len160_factors_4_10_4_wgs_192_tpt_16_dp_ip_CI_sbcc_dirReg_intrinsicReadWrite,@function
fft_rtc_back_len160_factors_4_10_4_wgs_192_tpt_16_dp_ip_CI_sbcc_dirReg_intrinsicReadWrite: ; @fft_rtc_back_len160_factors_4_10_4_wgs_192_tpt_16_dp_ip_CI_sbcc_dirReg_intrinsicReadWrite
; %bb.0:
	s_load_b128 s[8:11], s[0:1], 0x18
	s_mov_b32 s17, 0
	s_mov_b32 s2, 0x55540000
	s_movk_i32 s3, 0x55
	s_mov_b32 s16, s17
	s_mov_b64 s[24:25], 0
	s_add_nc_u64 s[2:3], s[16:17], s[2:3]
	s_delay_alu instid0(SALU_CYCLE_1) | instskip(NEXT) | instid1(SALU_CYCLE_1)
	s_add_co_i32 s3, s3, 0x15555500
	s_mul_u64 s[4:5], s[2:3], -12
	s_delay_alu instid0(SALU_CYCLE_1)
	s_mul_hi_u32 s7, s2, s5
	s_mul_i32 s6, s2, s5
	s_mul_hi_u32 s16, s2, s4
	s_mul_i32 s13, s3, s4
	s_add_nc_u64 s[6:7], s[16:17], s[6:7]
	s_mul_hi_u32 s12, s3, s4
	s_mul_hi_u32 s18, s3, s5
	s_mul_i32 s4, s3, s5
	s_wait_kmcnt 0x0
	s_load_b64 s[14:15], s[8:9], 0x8
	s_add_co_u32 s5, s6, s13
	s_add_co_ci_u32 s16, s7, s12
	s_add_co_ci_u32 s5, s18, 0
	s_delay_alu instid0(SALU_CYCLE_1) | instskip(NEXT) | instid1(SALU_CYCLE_1)
	s_add_nc_u64 s[4:5], s[16:17], s[4:5]
	v_add_co_u32 v1, s2, s2, s4
	s_delay_alu instid0(VALU_DEP_1) | instskip(SKIP_1) | instid1(VALU_DEP_1)
	s_cmp_lg_u32 s2, 0
	s_add_co_ci_u32 s6, s3, s5
	v_readfirstlane_b32 s7, v1
	s_wait_kmcnt 0x0
	s_add_nc_u64 s[2:3], s[14:15], -1
	s_wait_alu 0xfffe
	s_mul_hi_u32 s5, s2, s6
	s_mul_i32 s4, s2, s6
	s_mul_hi_u32 s16, s2, s7
	s_mul_hi_u32 s13, s3, s7
	s_mul_i32 s7, s3, s7
	s_wait_alu 0xfffe
	s_add_nc_u64 s[4:5], s[16:17], s[4:5]
	s_mul_hi_u32 s12, s3, s6
	s_wait_alu 0xfffe
	s_add_co_u32 s4, s4, s7
	s_add_co_ci_u32 s16, s5, s13
	s_mul_i32 s6, s3, s6
	s_add_co_ci_u32 s7, s12, 0
	s_delay_alu instid0(SALU_CYCLE_1) | instskip(SKIP_2) | instid1(SALU_CYCLE_1)
	s_add_nc_u64 s[4:5], s[16:17], s[6:7]
	s_wait_alu 0xfffe
	s_mul_u64 s[6:7], s[4:5], 12
	v_sub_co_u32 v1, s2, s2, s6
	s_delay_alu instid0(VALU_DEP_1) | instskip(SKIP_1) | instid1(VALU_DEP_1)
	s_cmp_lg_u32 s2, 0
	s_sub_co_ci_u32 s12, s3, s7
	v_sub_co_u32 v2, s6, v1, 12
	s_delay_alu instid0(VALU_DEP_1) | instskip(SKIP_2) | instid1(VALU_DEP_2)
	s_cmp_lg_u32 s6, 0
	v_readfirstlane_b32 s16, v1
	s_sub_co_ci_u32 s6, s12, 0
	v_readfirstlane_b32 s2, v2
	s_delay_alu instid0(VALU_DEP_1)
	s_cmp_gt_u32 s2, 11
	s_add_nc_u64 s[2:3], s[4:5], 1
	s_cselect_b32 s13, -1, 0
	s_wait_alu 0xfffe
	s_cmp_eq_u32 s6, 0
	s_add_nc_u64 s[6:7], s[4:5], 2
	s_cselect_b32 s13, s13, -1
	s_delay_alu instid0(SALU_CYCLE_1)
	s_cmp_lg_u32 s13, 0
	s_wait_alu 0xfffe
	s_cselect_b32 s2, s6, s2
	s_cselect_b32 s3, s7, s3
	s_cmp_gt_u32 s16, 11
	s_mov_b32 s16, ttmp9
	s_cselect_b32 s6, -1, 0
	s_cmp_eq_u32 s12, 0
	s_wait_alu 0xfffe
	s_cselect_b32 s6, s6, -1
	s_wait_alu 0xfffe
	s_cmp_lg_u32 s6, 0
	s_cselect_b32 s3, s3, s5
	s_cselect_b32 s2, s2, s4
	s_wait_alu 0xfffe
	s_add_nc_u64 s[18:19], s[2:3], 1
	s_delay_alu instid0(SALU_CYCLE_1) | instskip(NEXT) | instid1(VALU_DEP_1)
	v_cmp_lt_u64_e64 s2, s[16:17], s[18:19]
	s_and_b32 vcc_lo, exec_lo, s2
	s_cbranch_vccnz .LBB0_2
; %bb.1:
	v_cvt_f32_u32_e32 v1, s18
	s_sub_co_i32 s3, 0, s18
	s_mov_b32 s25, s17
	s_delay_alu instid0(VALU_DEP_1) | instskip(NEXT) | instid1(TRANS32_DEP_1)
	v_rcp_iflag_f32_e32 v1, v1
	v_mul_f32_e32 v1, 0x4f7ffffe, v1
	s_delay_alu instid0(VALU_DEP_1) | instskip(NEXT) | instid1(VALU_DEP_1)
	v_cvt_u32_f32_e32 v1, v1
	v_readfirstlane_b32 s2, v1
	s_wait_alu 0xfffe
	s_delay_alu instid0(VALU_DEP_1)
	s_mul_i32 s3, s3, s2
	s_wait_alu 0xfffe
	s_mul_hi_u32 s3, s2, s3
	s_wait_alu 0xfffe
	s_add_co_i32 s2, s2, s3
	s_wait_alu 0xfffe
	s_mul_hi_u32 s2, s16, s2
	s_wait_alu 0xfffe
	s_mul_i32 s3, s2, s18
	s_add_co_i32 s4, s2, 1
	s_wait_alu 0xfffe
	s_sub_co_i32 s3, s16, s3
	s_wait_alu 0xfffe
	s_sub_co_i32 s5, s3, s18
	s_cmp_ge_u32 s3, s18
	s_cselect_b32 s2, s4, s2
	s_wait_alu 0xfffe
	s_cselect_b32 s3, s5, s3
	s_add_co_i32 s4, s2, 1
	s_wait_alu 0xfffe
	s_cmp_ge_u32 s3, s18
	s_cselect_b32 s24, s4, s2
.LBB0_2:
	s_load_b64 s[22:23], s[0:1], 0x10
	s_load_b128 s[4:7], s[10:11], 0x0
	s_clause 0x1
	s_load_b64 s[2:3], s[0:1], 0x58
	s_load_b64 s[12:13], s[0:1], 0x0
	s_mul_u64 s[0:1], s[24:25], s[18:19]
	s_delay_alu instid0(SALU_CYCLE_1) | instskip(NEXT) | instid1(SALU_CYCLE_1)
	s_sub_nc_u64 s[0:1], s[16:17], s[0:1]
	s_mul_u64 s[20:21], s[0:1], 12
	s_wait_kmcnt 0x0
	v_cmp_lt_u64_e64 s5, s[22:23], 3
	s_mul_u64 s[0:1], s[6:7], s[20:21]
	s_delay_alu instid0(VALU_DEP_1)
	s_and_b32 vcc_lo, exec_lo, s5
	s_cbranch_vccnz .LBB0_12
; %bb.3:
	s_add_nc_u64 s[26:27], s[10:11], 16
	s_add_nc_u64 s[8:9], s[8:9], 16
	s_mov_b64 s[28:29], 2
	s_mov_b32 s30, 0
.LBB0_4:                                ; =>This Inner Loop Header: Depth=1
	s_load_b64 s[34:35], s[8:9], 0x0
                                        ; implicit-def: $sgpr38_sgpr39
	s_wait_kmcnt 0x0
	s_or_b64 s[36:37], s[24:25], s[34:35]
	s_delay_alu instid0(SALU_CYCLE_1)
	s_mov_b32 s31, s37
	s_mov_b32 s37, -1
	s_cmp_lg_u64 s[30:31], 0
	s_cbranch_scc0 .LBB0_6
; %bb.5:                                ;   in Loop: Header=BB0_4 Depth=1
	s_cvt_f32_u32 s5, s34
	s_cvt_f32_u32 s31, s35
	s_sub_nc_u64 s[40:41], 0, s[34:35]
	s_mov_b32 s37, 0
	s_mov_b32 s45, s30
	s_wait_alu 0xfffe
	s_fmamk_f32 s5, s31, 0x4f800000, s5
	s_wait_alu 0xfffe
	s_delay_alu instid0(SALU_CYCLE_2) | instskip(NEXT) | instid1(TRANS32_DEP_1)
	v_s_rcp_f32 s5, s5
	s_mul_f32 s5, s5, 0x5f7ffffc
	s_wait_alu 0xfffe
	s_delay_alu instid0(SALU_CYCLE_2) | instskip(NEXT) | instid1(SALU_CYCLE_3)
	s_mul_f32 s31, s5, 0x2f800000
	s_trunc_f32 s31, s31
	s_delay_alu instid0(SALU_CYCLE_3) | instskip(SKIP_2) | instid1(SALU_CYCLE_1)
	s_fmamk_f32 s5, s31, 0xcf800000, s5
	s_cvt_u32_f32 s39, s31
	s_wait_alu 0xfffe
	s_cvt_u32_f32 s38, s5
	s_wait_alu 0xfffe
	s_delay_alu instid0(SALU_CYCLE_2)
	s_mul_u64 s[42:43], s[40:41], s[38:39]
	s_wait_alu 0xfffe
	s_mul_hi_u32 s47, s38, s43
	s_mul_i32 s46, s38, s43
	s_mul_hi_u32 s36, s38, s42
	s_mul_i32 s31, s39, s42
	s_add_nc_u64 s[46:47], s[36:37], s[46:47]
	s_mul_hi_u32 s5, s39, s42
	s_mul_hi_u32 s33, s39, s43
	s_add_co_u32 s31, s46, s31
	s_wait_alu 0xfffe
	s_add_co_ci_u32 s44, s47, s5
	s_mul_i32 s42, s39, s43
	s_add_co_ci_u32 s43, s33, 0
	s_wait_alu 0xfffe
	s_add_nc_u64 s[42:43], s[44:45], s[42:43]
	s_wait_alu 0xfffe
	v_add_co_u32 v1, s5, s38, s42
	s_delay_alu instid0(VALU_DEP_1) | instskip(SKIP_1) | instid1(VALU_DEP_1)
	s_cmp_lg_u32 s5, 0
	s_add_co_ci_u32 s39, s39, s43
	v_readfirstlane_b32 s38, v1
	s_mov_b32 s43, s30
	s_wait_alu 0xfffe
	s_delay_alu instid0(VALU_DEP_1)
	s_mul_u64 s[40:41], s[40:41], s[38:39]
	s_wait_alu 0xfffe
	s_mul_hi_u32 s45, s38, s41
	s_mul_i32 s44, s38, s41
	s_mul_hi_u32 s36, s38, s40
	s_mul_i32 s31, s39, s40
	s_add_nc_u64 s[44:45], s[36:37], s[44:45]
	s_mul_hi_u32 s5, s39, s40
	s_mul_hi_u32 s33, s39, s41
	s_add_co_u32 s31, s44, s31
	s_wait_alu 0xfffe
	s_add_co_ci_u32 s42, s45, s5
	s_mul_i32 s40, s39, s41
	s_add_co_ci_u32 s41, s33, 0
	s_wait_alu 0xfffe
	s_add_nc_u64 s[40:41], s[42:43], s[40:41]
	s_wait_alu 0xfffe
	v_add_co_u32 v1, s5, v1, s40
	s_delay_alu instid0(VALU_DEP_1) | instskip(SKIP_1) | instid1(VALU_DEP_1)
	s_cmp_lg_u32 s5, 0
	s_add_co_ci_u32 s5, s39, s41
	v_readfirstlane_b32 s31, v1
	s_wait_alu 0xfffe
	s_mul_hi_u32 s39, s24, s5
	s_mul_i32 s38, s24, s5
	s_mul_hi_u32 s33, s25, s5
	s_mul_i32 s40, s25, s5
	s_mul_hi_u32 s36, s24, s31
	s_mul_i32 s5, s25, s31
	s_wait_alu 0xfffe
	s_add_nc_u64 s[38:39], s[36:37], s[38:39]
	s_mul_hi_u32 s31, s25, s31
	s_wait_alu 0xfffe
	s_add_co_u32 s5, s38, s5
	s_add_co_ci_u32 s42, s39, s31
	s_add_co_ci_u32 s41, s33, 0
	s_wait_alu 0xfffe
	s_add_nc_u64 s[38:39], s[42:43], s[40:41]
	s_wait_alu 0xfffe
	s_mul_u64 s[40:41], s[34:35], s[38:39]
	s_add_nc_u64 s[42:43], s[38:39], 1
	s_wait_alu 0xfffe
	v_sub_co_u32 v1, s5, s24, s40
	s_sub_co_i32 s31, s25, s41
	s_cmp_lg_u32 s5, 0
	s_add_nc_u64 s[44:45], s[38:39], 2
	s_delay_alu instid0(VALU_DEP_1) | instskip(SKIP_2) | instid1(VALU_DEP_1)
	v_sub_co_u32 v2, s33, v1, s34
	s_sub_co_ci_u32 s31, s31, s35
	s_cmp_lg_u32 s33, 0
	v_readfirstlane_b32 s33, v2
	s_sub_co_ci_u32 s31, s31, 0
	s_delay_alu instid0(SALU_CYCLE_1) | instskip(SKIP_1) | instid1(VALU_DEP_1)
	s_cmp_ge_u32 s31, s35
	s_cselect_b32 s36, -1, 0
	s_cmp_ge_u32 s33, s34
	s_cselect_b32 s33, -1, 0
	s_cmp_eq_u32 s31, s35
	s_cselect_b32 s31, s33, s36
	s_delay_alu instid0(SALU_CYCLE_1)
	s_cmp_lg_u32 s31, 0
	s_cselect_b32 s31, s44, s42
	s_cselect_b32 s33, s45, s43
	s_cmp_lg_u32 s5, 0
	v_readfirstlane_b32 s5, v1
	s_sub_co_ci_u32 s36, s25, s41
	s_delay_alu instid0(SALU_CYCLE_1) | instskip(SKIP_1) | instid1(VALU_DEP_1)
	s_cmp_ge_u32 s36, s35
	s_cselect_b32 s40, -1, 0
	s_cmp_ge_u32 s5, s34
	s_cselect_b32 s5, -1, 0
	s_cmp_eq_u32 s36, s35
	s_wait_alu 0xfffe
	s_cselect_b32 s5, s5, s40
	s_wait_alu 0xfffe
	s_cmp_lg_u32 s5, 0
	s_cselect_b32 s39, s33, s39
	s_cselect_b32 s38, s31, s38
.LBB0_6:                                ;   in Loop: Header=BB0_4 Depth=1
	s_and_not1_b32 vcc_lo, exec_lo, s37
	s_cbranch_vccnz .LBB0_8
; %bb.7:                                ;   in Loop: Header=BB0_4 Depth=1
	v_cvt_f32_u32_e32 v1, s34
	s_sub_co_i32 s31, 0, s34
	s_mov_b32 s39, s30
	s_delay_alu instid0(VALU_DEP_1) | instskip(NEXT) | instid1(TRANS32_DEP_1)
	v_rcp_iflag_f32_e32 v1, v1
	v_mul_f32_e32 v1, 0x4f7ffffe, v1
	s_delay_alu instid0(VALU_DEP_1) | instskip(NEXT) | instid1(VALU_DEP_1)
	v_cvt_u32_f32_e32 v1, v1
	v_readfirstlane_b32 s5, v1
	s_delay_alu instid0(VALU_DEP_1) | instskip(NEXT) | instid1(SALU_CYCLE_1)
	s_mul_i32 s31, s31, s5
	s_mul_hi_u32 s31, s5, s31
	s_delay_alu instid0(SALU_CYCLE_1)
	s_add_co_i32 s5, s5, s31
	s_wait_alu 0xfffe
	s_mul_hi_u32 s5, s24, s5
	s_wait_alu 0xfffe
	s_mul_i32 s31, s5, s34
	s_add_co_i32 s33, s5, 1
	s_sub_co_i32 s31, s24, s31
	s_delay_alu instid0(SALU_CYCLE_1)
	s_sub_co_i32 s36, s31, s34
	s_cmp_ge_u32 s31, s34
	s_cselect_b32 s5, s33, s5
	s_cselect_b32 s31, s36, s31
	s_wait_alu 0xfffe
	s_add_co_i32 s33, s5, 1
	s_cmp_ge_u32 s31, s34
	s_cselect_b32 s38, s33, s5
.LBB0_8:                                ;   in Loop: Header=BB0_4 Depth=1
	s_load_b64 s[36:37], s[26:27], 0x0
	s_add_nc_u64 s[28:29], s[28:29], 1
	s_mul_u64 s[18:19], s[34:35], s[18:19]
	s_wait_alu 0xfffe
	v_cmp_ge_u64_e64 s5, s[28:29], s[22:23]
	s_mul_u64 s[34:35], s[38:39], s[34:35]
	s_add_nc_u64 s[26:27], s[26:27], 8
	s_wait_alu 0xfffe
	s_sub_nc_u64 s[24:25], s[24:25], s[34:35]
	s_add_nc_u64 s[8:9], s[8:9], 8
	s_and_b32 vcc_lo, exec_lo, s5
	s_wait_kmcnt 0x0
	s_wait_alu 0xfffe
	s_mul_u64 s[24:25], s[36:37], s[24:25]
	s_wait_alu 0xfffe
	s_add_nc_u64 s[0:1], s[24:25], s[0:1]
	s_cbranch_vccnz .LBB0_10
; %bb.9:                                ;   in Loop: Header=BB0_4 Depth=1
	s_mov_b64 s[24:25], s[38:39]
	s_branch .LBB0_4
.LBB0_10:
	v_cmp_lt_u64_e64 s5, s[16:17], s[18:19]
	s_mov_b64 s[24:25], 0
	s_delay_alu instid0(VALU_DEP_1)
	s_and_b32 vcc_lo, exec_lo, s5
	s_cbranch_vccnz .LBB0_12
; %bb.11:
	v_cvt_f32_u32_e32 v1, s18
	s_sub_co_i32 s8, 0, s18
	s_mov_b32 s25, 0
	s_delay_alu instid0(VALU_DEP_1) | instskip(NEXT) | instid1(TRANS32_DEP_1)
	v_rcp_iflag_f32_e32 v1, v1
	v_mul_f32_e32 v1, 0x4f7ffffe, v1
	s_delay_alu instid0(VALU_DEP_1) | instskip(NEXT) | instid1(VALU_DEP_1)
	v_cvt_u32_f32_e32 v1, v1
	v_readfirstlane_b32 s5, v1
	s_delay_alu instid0(VALU_DEP_1) | instskip(NEXT) | instid1(SALU_CYCLE_1)
	s_mul_i32 s8, s8, s5
	s_mul_hi_u32 s8, s5, s8
	s_delay_alu instid0(SALU_CYCLE_1)
	s_add_co_i32 s5, s5, s8
	s_wait_alu 0xfffe
	s_mul_hi_u32 s5, s16, s5
	s_wait_alu 0xfffe
	s_mul_i32 s8, s5, s18
	s_add_co_i32 s9, s5, 1
	s_sub_co_i32 s8, s16, s8
	s_delay_alu instid0(SALU_CYCLE_1)
	s_sub_co_i32 s16, s8, s18
	s_cmp_ge_u32 s8, s18
	s_cselect_b32 s5, s9, s5
	s_wait_alu 0xfffe
	s_cselect_b32 s8, s16, s8
	s_add_co_i32 s9, s5, 1
	s_cmp_ge_u32 s8, s18
	s_cselect_b32 s24, s9, s5
.LBB0_12:
	v_mul_u32_u24_e32 v1, 0x1556, v0
	s_lshl_b64 s[8:9], s[22:23], 3
	v_mov_b32_e32 v3, 0
	s_add_nc_u64 s[8:9], s[10:11], s[8:9]
	v_mov_b32_e32 v4, 0
	v_lshrrev_b32_e32 v63, 16, v1
	s_load_b64 s[10:11], s[8:9], 0x0
	s_add_nc_u64 s[8:9], s[20:21], 12
	s_delay_alu instid0(SALU_CYCLE_1) | instskip(NEXT) | instid1(VALU_DEP_2)
	v_cmp_le_u64_e64 s8, s[8:9], s[14:15]
	v_mul_lo_u16 v1, v63, 12
	v_dual_mov_b32 v8, v4 :: v_dual_mov_b32 v7, v3
	s_delay_alu instid0(VALU_DEP_2) | instskip(NEXT) | instid1(VALU_DEP_1)
	v_sub_nc_u16 v1, v0, v1
	v_and_b32_e32 v49, 0xffff, v1
	s_delay_alu instid0(VALU_DEP_1) | instskip(SKIP_3) | instid1(VALU_DEP_3)
	v_mad_co_u64_u32 v[61:62], null, s6, v49, 0
	v_add_co_u32 v5, s5, s20, v49
	s_wait_alu 0xf1ff
	v_add_co_ci_u32_e64 v6, null, s21, 0, s5
	v_mov_b32_e32 v1, v62
	s_delay_alu instid0(VALU_DEP_2) | instskip(SKIP_1) | instid1(VALU_DEP_3)
	v_cmp_gt_u64_e32 vcc_lo, s[14:15], v[5:6]
	v_dual_mov_b32 v6, v4 :: v_dual_mov_b32 v5, v3
	v_mad_co_u64_u32 v[1:2], null, s7, v49, v[1:2]
	s_wait_kmcnt 0x0
	s_mul_u64 s[6:7], s[10:11], s[24:25]
	s_or_b32 s5, s8, vcc_lo
	s_wait_alu 0xfffe
	s_add_nc_u64 s[6:7], s[6:7], s[0:1]
	s_and_saveexec_b32 s1, s5
	s_cbranch_execz .LBB0_14
; %bb.13:
	v_mul_lo_u32 v1, s4, v63
	v_mov_b32_e32 v2, 0
	s_wait_alu 0xfffe
	s_delay_alu instid0(VALU_DEP_2) | instskip(NEXT) | instid1(VALU_DEP_1)
	v_add3_u32 v1, s6, v61, v1
	v_lshlrev_b64_e32 v[1:2], 4, v[1:2]
	s_delay_alu instid0(VALU_DEP_1) | instskip(NEXT) | instid1(VALU_DEP_1)
	v_add_co_u32 v1, s0, s2, v1
	v_add_co_ci_u32_e64 v2, s0, s3, v2, s0
	global_load_b128 v[5:8], v[1:2], off
.LBB0_14:
	s_or_b32 exec_lo, exec_lo, s1
	v_dual_mov_b32 v1, v3 :: v_dual_add_nc_u32 v62, 40, v63
	v_mov_b32_e32 v2, v4
	s_and_saveexec_b32 s1, s5
	s_cbranch_execz .LBB0_16
; %bb.15:
	s_delay_alu instid0(VALU_DEP_2) | instskip(SKIP_2) | instid1(VALU_DEP_2)
	v_mul_lo_u32 v1, s4, v62
	v_mov_b32_e32 v2, 0
	s_wait_alu 0xfffe
	v_add3_u32 v1, s6, v61, v1
	s_delay_alu instid0(VALU_DEP_1) | instskip(NEXT) | instid1(VALU_DEP_1)
	v_lshlrev_b64_e32 v[1:2], 4, v[1:2]
	v_add_co_u32 v1, s0, s2, v1
	s_wait_alu 0xf1ff
	s_delay_alu instid0(VALU_DEP_2)
	v_add_co_ci_u32_e64 v2, s0, s3, v2, s0
	global_load_b128 v[1:4], v[1:2], off
.LBB0_16:
	s_wait_alu 0xfffe
	s_or_b32 exec_lo, exec_lo, s1
	v_dual_mov_b32 v11, 0 :: v_dual_add_nc_u32 v64, 0x50, v63
	v_mov_b32_e32 v12, 0
	s_delay_alu instid0(VALU_DEP_1)
	v_dual_mov_b32 v16, v12 :: v_dual_mov_b32 v15, v11
	v_dual_mov_b32 v14, v12 :: v_dual_mov_b32 v13, v11
	s_and_saveexec_b32 s1, s5
	s_cbranch_execz .LBB0_18
; %bb.17:
	v_mul_lo_u32 v9, s4, v64
	v_mov_b32_e32 v10, 0
	s_delay_alu instid0(VALU_DEP_2) | instskip(NEXT) | instid1(VALU_DEP_1)
	v_add3_u32 v9, s6, v61, v9
	v_lshlrev_b64_e32 v[9:10], 4, v[9:10]
	s_delay_alu instid0(VALU_DEP_1) | instskip(SKIP_1) | instid1(VALU_DEP_2)
	v_add_co_u32 v9, s0, s2, v9
	s_wait_alu 0xf1ff
	v_add_co_ci_u32_e64 v10, s0, s3, v10, s0
	global_load_b128 v[13:16], v[9:10], off
.LBB0_18:
	s_wait_alu 0xfffe
	s_or_b32 exec_lo, exec_lo, s1
	v_mov_b32_e32 v9, v11
	v_dual_mov_b32 v10, v12 :: v_dual_add_nc_u32 v65, 0x78, v63
	s_and_saveexec_b32 s1, s5
	s_cbranch_execz .LBB0_20
; %bb.19:
	s_delay_alu instid0(VALU_DEP_1) | instskip(SKIP_1) | instid1(VALU_DEP_2)
	v_mul_lo_u32 v9, s4, v65
	v_mov_b32_e32 v10, 0
	v_add3_u32 v9, s6, v61, v9
	s_delay_alu instid0(VALU_DEP_1) | instskip(NEXT) | instid1(VALU_DEP_1)
	v_lshlrev_b64_e32 v[9:10], 4, v[9:10]
	v_add_co_u32 v9, s0, s2, v9
	s_wait_alu 0xf1ff
	s_delay_alu instid0(VALU_DEP_2)
	v_add_co_ci_u32_e64 v10, s0, s3, v10, s0
	global_load_b128 v[9:12], v[9:10], off
.LBB0_20:
	s_wait_alu 0xfffe
	s_or_b32 exec_lo, exec_lo, s1
	v_mov_b32_e32 v19, 0
	v_dual_mov_b32 v20, 0 :: v_dual_add_nc_u32 v67, 16, v63
	s_delay_alu instid0(VALU_DEP_1)
	v_dual_mov_b32 v24, v20 :: v_dual_mov_b32 v23, v19
	v_dual_mov_b32 v22, v20 :: v_dual_mov_b32 v21, v19
	s_and_saveexec_b32 s1, s5
	s_cbranch_execz .LBB0_22
; %bb.21:
	v_mul_lo_u32 v17, s4, v67
	v_mov_b32_e32 v18, 0
	s_delay_alu instid0(VALU_DEP_2) | instskip(NEXT) | instid1(VALU_DEP_1)
	v_add3_u32 v17, s6, v61, v17
	v_lshlrev_b64_e32 v[17:18], 4, v[17:18]
	s_delay_alu instid0(VALU_DEP_1) | instskip(SKIP_1) | instid1(VALU_DEP_2)
	v_add_co_u32 v17, s0, s2, v17
	s_wait_alu 0xf1ff
	v_add_co_ci_u32_e64 v18, s0, s3, v18, s0
	global_load_b128 v[21:24], v[17:18], off
.LBB0_22:
	s_wait_alu 0xfffe
	s_or_b32 exec_lo, exec_lo, s1
	v_dual_mov_b32 v17, v19 :: v_dual_mov_b32 v18, v20
	s_and_saveexec_b32 s1, s5
	s_cbranch_execz .LBB0_24
; %bb.23:
	v_dual_mov_b32 v18, 0 :: v_dual_add_nc_u32 v17, 56, v63
	s_delay_alu instid0(VALU_DEP_1) | instskip(NEXT) | instid1(VALU_DEP_1)
	v_mul_lo_u32 v17, s4, v17
	v_add3_u32 v17, s6, v61, v17
	s_delay_alu instid0(VALU_DEP_1) | instskip(NEXT) | instid1(VALU_DEP_1)
	v_lshlrev_b64_e32 v[17:18], 4, v[17:18]
	v_add_co_u32 v17, s0, s2, v17
	s_wait_alu 0xf1ff
	s_delay_alu instid0(VALU_DEP_2)
	v_add_co_ci_u32_e64 v18, s0, s3, v18, s0
	global_load_b128 v[17:20], v[17:18], off
.LBB0_24:
	s_wait_alu 0xfffe
	s_or_b32 exec_lo, exec_lo, s1
	v_mov_b32_e32 v27, 0
	v_mov_b32_e32 v28, 0
	s_delay_alu instid0(VALU_DEP_1)
	v_dual_mov_b32 v32, v28 :: v_dual_mov_b32 v31, v27
	v_dual_mov_b32 v30, v28 :: v_dual_mov_b32 v29, v27
	s_and_saveexec_b32 s1, s5
	s_cbranch_execz .LBB0_26
; %bb.25:
	v_or_b32_e32 v25, 0x60, v63
	v_mov_b32_e32 v26, 0
	s_delay_alu instid0(VALU_DEP_2) | instskip(NEXT) | instid1(VALU_DEP_1)
	v_mul_lo_u32 v25, s4, v25
	v_add3_u32 v25, s6, v61, v25
	s_delay_alu instid0(VALU_DEP_1) | instskip(NEXT) | instid1(VALU_DEP_1)
	v_lshlrev_b64_e32 v[25:26], 4, v[25:26]
	v_add_co_u32 v25, s0, s2, v25
	s_wait_alu 0xf1ff
	s_delay_alu instid0(VALU_DEP_2)
	v_add_co_ci_u32_e64 v26, s0, s3, v26, s0
	global_load_b128 v[29:32], v[25:26], off
.LBB0_26:
	s_wait_alu 0xfffe
	s_or_b32 exec_lo, exec_lo, s1
	v_dual_mov_b32 v25, v27 :: v_dual_mov_b32 v26, v28
	s_and_saveexec_b32 s1, s5
	s_cbranch_execz .LBB0_28
; %bb.27:
	v_dual_mov_b32 v26, 0 :: v_dual_add_nc_u32 v25, 0x88, v63
	s_delay_alu instid0(VALU_DEP_1) | instskip(NEXT) | instid1(VALU_DEP_1)
	v_mul_lo_u32 v25, s4, v25
	v_add3_u32 v25, s6, v61, v25
	s_delay_alu instid0(VALU_DEP_1) | instskip(NEXT) | instid1(VALU_DEP_1)
	v_lshlrev_b64_e32 v[25:26], 4, v[25:26]
	v_add_co_u32 v25, s0, s2, v25
	s_wait_alu 0xf1ff
	s_delay_alu instid0(VALU_DEP_2)
	v_add_co_ci_u32_e64 v26, s0, s3, v26, s0
	global_load_b128 v[25:28], v[25:26], off
.LBB0_28:
	s_wait_alu 0xfffe
	s_or_b32 exec_lo, exec_lo, s1
	v_cmp_gt_u32_e64 s1, 0x60, v0
	v_cmp_lt_u32_e64 s0, 0x5f, v0
	v_cndmask_b32_e64 v34, 0, 1, vcc_lo
	v_mov_b32_e32 v35, 0
	v_or_b32_e32 v66, 32, v63
	s_wait_alu 0xf1ff
	v_cndmask_b32_e64 v33, 0, 1, s1
	s_or_b32 vcc_lo, s0, s8
	s_wait_alu 0xfffe
	s_delay_alu instid0(VALU_DEP_1) | instskip(NEXT) | instid1(VALU_DEP_1)
	v_dual_mov_b32 v36, 0 :: v_dual_cndmask_b32 v33, v34, v33
	v_dual_mov_b32 v40, v36 :: v_dual_mov_b32 v39, v35
	s_delay_alu instid0(VALU_DEP_2) | instskip(SKIP_1) | instid1(VALU_DEP_2)
	v_dual_mov_b32 v38, v36 :: v_dual_and_b32 v33, 1, v33
	v_mov_b32_e32 v37, v35
	v_cmp_eq_u32_e32 vcc_lo, 1, v33
	s_and_saveexec_b32 s1, vcc_lo
	s_cbranch_execz .LBB0_30
; %bb.29:
	v_mul_lo_u32 v33, s4, v66
	v_mov_b32_e32 v34, 0
	s_delay_alu instid0(VALU_DEP_2) | instskip(NEXT) | instid1(VALU_DEP_1)
	v_add3_u32 v33, s6, v61, v33
	v_lshlrev_b64_e32 v[33:34], 4, v[33:34]
	s_delay_alu instid0(VALU_DEP_1) | instskip(SKIP_1) | instid1(VALU_DEP_2)
	v_add_co_u32 v33, s0, s2, v33
	s_wait_alu 0xf1ff
	v_add_co_ci_u32_e64 v34, s0, s3, v34, s0
	global_load_b128 v[37:40], v[33:34], off
.LBB0_30:
	s_wait_alu 0xfffe
	s_or_b32 exec_lo, exec_lo, s1
	v_dual_mov_b32 v33, v35 :: v_dual_mov_b32 v34, v36
	s_and_saveexec_b32 s1, vcc_lo
	s_cbranch_execz .LBB0_32
; %bb.31:
	v_dual_mov_b32 v34, 0 :: v_dual_add_nc_u32 v33, 0x48, v63
	s_delay_alu instid0(VALU_DEP_1) | instskip(NEXT) | instid1(VALU_DEP_1)
	v_mul_lo_u32 v33, s4, v33
	v_add3_u32 v33, s6, v61, v33
	s_delay_alu instid0(VALU_DEP_1) | instskip(NEXT) | instid1(VALU_DEP_1)
	v_lshlrev_b64_e32 v[33:34], 4, v[33:34]
	v_add_co_u32 v33, s0, s2, v33
	s_wait_alu 0xf1ff
	s_delay_alu instid0(VALU_DEP_2)
	v_add_co_ci_u32_e64 v34, s0, s3, v34, s0
	global_load_b128 v[33:36], v[33:34], off
.LBB0_32:
	s_wait_alu 0xfffe
	s_or_b32 exec_lo, exec_lo, s1
	v_mov_b32_e32 v43, 0
	v_mov_b32_e32 v44, 0
	s_delay_alu instid0(VALU_DEP_1)
	v_dual_mov_b32 v48, v44 :: v_dual_mov_b32 v47, v43
	v_dual_mov_b32 v46, v44 :: v_dual_mov_b32 v45, v43
	s_and_saveexec_b32 s1, vcc_lo
	s_cbranch_execz .LBB0_34
; %bb.33:
	v_dual_mov_b32 v42, 0 :: v_dual_add_nc_u32 v41, 0x70, v63
	s_delay_alu instid0(VALU_DEP_1) | instskip(NEXT) | instid1(VALU_DEP_1)
	v_mul_lo_u32 v41, s4, v41
	v_add3_u32 v41, s6, v61, v41
	s_delay_alu instid0(VALU_DEP_1) | instskip(NEXT) | instid1(VALU_DEP_1)
	v_lshlrev_b64_e32 v[41:42], 4, v[41:42]
	v_add_co_u32 v41, s0, s2, v41
	s_wait_alu 0xf1ff
	s_delay_alu instid0(VALU_DEP_2)
	v_add_co_ci_u32_e64 v42, s0, s3, v42, s0
	global_load_b128 v[45:48], v[41:42], off
.LBB0_34:
	s_wait_alu 0xfffe
	s_or_b32 exec_lo, exec_lo, s1
	v_dual_mov_b32 v41, v43 :: v_dual_mov_b32 v42, v44
	s_and_saveexec_b32 s1, vcc_lo
	s_cbranch_execz .LBB0_36
; %bb.35:
	v_dual_mov_b32 v42, 0 :: v_dual_add_nc_u32 v41, 0x98, v63
	s_delay_alu instid0(VALU_DEP_1) | instskip(NEXT) | instid1(VALU_DEP_1)
	v_mul_lo_u32 v41, s4, v41
	v_add3_u32 v41, s6, v61, v41
	s_delay_alu instid0(VALU_DEP_1) | instskip(NEXT) | instid1(VALU_DEP_1)
	v_lshlrev_b64_e32 v[41:42], 4, v[41:42]
	v_add_co_u32 v41, s0, s2, v41
	s_wait_alu 0xf1ff
	s_delay_alu instid0(VALU_DEP_2)
	v_add_co_ci_u32_e64 v42, s0, s3, v42, s0
	global_load_b128 v[41:44], v[41:42], off
.LBB0_36:
	s_wait_alu 0xfffe
	s_or_b32 exec_lo, exec_lo, s1
	s_wait_loadcnt 0x0
	v_add_f64_e64 v[50:51], v[5:6], -v[13:14]
	v_add_f64_e64 v[52:53], v[7:8], -v[15:16]
	;; [unrolled: 1-line block ×12, first 2 shown]
	v_cmp_gt_u32_e64 s0, 0x60, v0
	v_fma_f64 v[5:6], v[5:6], 2.0, -v[50:51]
	v_fma_f64 v[7:8], v[7:8], 2.0, -v[52:53]
	;; [unrolled: 1-line block ×8, first 2 shown]
	v_add_f64_e32 v[20:21], v[50:51], v[11:12]
	v_add_f64_e64 v[22:23], v[52:53], -v[15:16]
	v_add_f64_e32 v[24:25], v[54:55], v[25:26]
	v_add_f64_e64 v[26:27], v[56:57], -v[29:30]
	v_fma_f64 v[11:12], v[37:38], 2.0, -v[9:10]
	v_fma_f64 v[15:16], v[39:40], 2.0, -v[13:14]
	v_add_f64_e64 v[28:29], v[5:6], -v[1:2]
	v_add_f64_e64 v[30:31], v[7:8], -v[3:4]
	v_add_f64_e32 v[1:2], v[9:10], v[45:46]
	v_add_f64_e64 v[3:4], v[13:14], -v[72:73]
	v_add_f64_e64 v[41:42], v[58:59], -v[17:18]
	v_add_f64_e64 v[43:44], v[68:69], -v[70:71]
	v_fma_f64 v[17:18], v[33:34], 2.0, -v[72:73]
	v_fma_f64 v[70:71], v[35:36], 2.0, -v[45:46]
	;; [unrolled: 1-line block ×10, first 2 shown]
	v_add_f64_e64 v[5:6], v[11:12], -v[17:18]
	v_add_f64_e64 v[7:8], v[15:16], -v[70:71]
	v_mul_u32_u24_e32 v17, 48, v63
	s_delay_alu instid0(VALU_DEP_1) | instskip(SKIP_1) | instid1(VALU_DEP_2)
	v_lshl_add_u32 v18, v17, 4, 0
	v_lshlrev_b32_e32 v17, 4, v49
	v_add_nc_u32_e32 v19, 0x3000, v18
	s_delay_alu instid0(VALU_DEP_2) | instskip(NEXT) | instid1(VALU_DEP_2)
	v_add_nc_u32_e32 v40, v18, v17
	v_add_nc_u32_e32 v0, v19, v17
	ds_store_b128 v40, v[28:31] offset:384
	ds_store_b128 v40, v[20:23] offset:576
	ds_store_b128 v40, v[45:48]
	ds_store_b128 v40, v[32:35] offset:192
	ds_store_b128 v0, v[50:53]
	ds_store_b128 v0, v[36:39] offset:192
	ds_store_b128 v0, v[41:44] offset:384
	;; [unrolled: 1-line block ×3, first 2 shown]
	s_and_saveexec_b32 s1, s0
	s_cbranch_execz .LBB0_38
; %bb.37:
	v_fma_f64 v[22:23], v[15:16], 2.0, -v[7:8]
	v_fma_f64 v[20:21], v[11:12], 2.0, -v[5:6]
	;; [unrolled: 1-line block ×4, first 2 shown]
	v_lshl_add_u32 v0, v49, 4, v19
	ds_store_b128 v0, v[20:23] offset:12288
	ds_store_b128 v0, v[11:14] offset:12480
	;; [unrolled: 1-line block ×4, first 2 shown]
.LBB0_38:
	s_wait_alu 0xfffe
	s_or_b32 exec_lo, exec_lo, s1
	v_and_b32_e32 v0, 3, v63
	global_wb scope:SCOPE_SE
	s_wait_dscnt 0x0
	s_barrier_signal -1
	s_barrier_wait -1
	global_inv scope:SCOPE_SE
	v_mul_u32_u24_e32 v9, 9, v0
	v_mul_i32_i24_e32 v48, 0xfffffdc0, v63
	v_mul_i32_i24_e32 v60, 0xfffffdc0, v67
	s_mov_b32 s10, 0x134454ff
	s_mov_b32 s11, 0xbfee6f0e
	v_lshlrev_b32_e32 v44, 4, v9
	v_add3_u32 v18, v18, v48, v17
	v_add3_u32 v19, v19, v60, v17
	s_mov_b32 s9, 0x3fee6f0e
	s_mov_b32 s8, s10
	s_clause 0x8
	global_load_b128 v[9:12], v44, s[12:13] offset:32
	global_load_b128 v[13:16], v44, s[12:13] offset:64
	;; [unrolled: 1-line block ×4, first 2 shown]
	global_load_b128 v[28:31], v44, s[12:13]
	global_load_b128 v[32:35], v44, s[12:13] offset:16
	global_load_b128 v[36:39], v44, s[12:13] offset:48
	;; [unrolled: 1-line block ×4, first 2 shown]
	ds_load_b128 v[48:51], v18 offset:9216
	ds_load_b128 v[52:55], v18 offset:15360
	;; [unrolled: 1-line block ×4, first 2 shown]
	ds_load_b128 v[72:75], v18
	ds_load_b128 v[76:79], v19
	ds_load_b128 v[80:83], v19 offset:3072
	s_mov_b32 s16, 0x4755a5e
	s_mov_b32 s17, 0xbfe2cf23
	;; [unrolled: 1-line block ×3, first 2 shown]
	s_wait_alu 0xfffe
	s_mov_b32 s14, s16
	s_mov_b32 s18, 0x372fe950
	;; [unrolled: 1-line block ×6, first 2 shown]
	s_wait_alu 0xfffe
	s_mov_b32 s22, s18
	s_mov_b32 s25, 0xbfe9e377
	s_mov_b32 s24, s20
	s_wait_loadcnt_dscnt 0x806
	v_mul_f64_e32 v[84:85], v[48:49], v[11:12]
	s_wait_loadcnt_dscnt 0x705
	v_mul_f64_e32 v[86:87], v[52:53], v[15:16]
	;; [unrolled: 2-line block ×4, first 2 shown]
	v_mul_f64_e32 v[11:12], v[50:51], v[11:12]
	v_mul_f64_e32 v[15:16], v[54:55], v[15:16]
	;; [unrolled: 1-line block ×4, first 2 shown]
	s_wait_loadcnt_dscnt 0x401
	v_mul_f64_e32 v[96:97], v[76:77], v[30:31]
	s_wait_loadcnt_dscnt 0x300
	v_mul_f64_e32 v[98:99], v[82:83], v[34:35]
	v_mul_f64_e32 v[34:35], v[80:81], v[34:35]
	v_fma_f64 v[50:51], v[50:51], v[9:10], -v[84:85]
	v_fma_f64 v[54:55], v[54:55], v[13:14], -v[86:87]
	;; [unrolled: 1-line block ×4, first 2 shown]
	ds_load_b128 v[84:87], v18 offset:12288
	ds_load_b128 v[88:91], v18 offset:18432
	ds_load_b128 v[92:95], v18 offset:24576
	v_fma_f64 v[9:10], v[48:49], v[9:10], v[11:12]
	v_mul_f64_e32 v[11:12], v[78:79], v[30:31]
	v_fma_f64 v[13:14], v[52:53], v[13:14], v[15:16]
	v_fma_f64 v[15:16], v[56:57], v[20:21], v[22:23]
	;; [unrolled: 1-line block ×3, first 2 shown]
	v_fma_f64 v[22:23], v[78:79], v[28:29], -v[96:97]
	v_fma_f64 v[30:31], v[80:81], v[32:33], v[98:99]
	v_fma_f64 v[32:33], v[82:83], v[32:33], -v[34:35]
	global_wb scope:SCOPE_SE
	s_wait_loadcnt_dscnt 0x0
	s_barrier_signal -1
	s_barrier_wait -1
	global_inv scope:SCOPE_SE
	v_mul_f64_e32 v[100:101], v[86:87], v[38:39]
	v_mul_f64_e32 v[38:39], v[84:85], v[38:39]
	;; [unrolled: 1-line block ×6, first 2 shown]
	v_add_f64_e64 v[80:81], v[50:51], -v[54:55]
	v_add_f64_e32 v[24:25], v[54:55], v[58:59]
	v_add_f64_e32 v[26:27], v[50:51], v[70:71]
	v_add_f64_e64 v[82:83], v[70:71], -v[58:59]
	v_fma_f64 v[11:12], v[76:77], v[28:29], v[11:12]
	v_add_f64_e64 v[96:97], v[9:10], -v[13:14]
	v_add_f64_e32 v[28:29], v[13:14], v[15:16]
	v_add_f64_e64 v[52:53], v[9:10], -v[20:21]
	v_add_f64_e64 v[98:99], v[20:21], -v[15:16]
	v_fma_f64 v[34:35], v[84:85], v[36:37], v[100:101]
	v_fma_f64 v[36:37], v[86:87], v[36:37], -v[38:39]
	v_fma_f64 v[38:39], v[88:89], v[40:41], v[102:103]
	v_fma_f64 v[48:49], v[92:93], v[44:45], v[104:105]
	v_fma_f64 v[40:41], v[90:91], v[40:41], -v[42:43]
	v_fma_f64 v[42:43], v[94:95], v[44:45], -v[46:47]
	v_add_f64_e32 v[44:45], v[9:10], v[20:21]
	v_add_f64_e64 v[46:47], v[13:14], -v[15:16]
	v_add_f64_e64 v[84:85], v[54:55], -v[50:51]
	;; [unrolled: 1-line block ×5, first 2 shown]
	v_add_f64_e32 v[102:103], v[72:73], v[30:31]
	v_add_f64_e32 v[104:105], v[74:75], v[32:33]
	v_add_f64_e64 v[100:101], v[15:16], -v[20:21]
	v_fma_f64 v[24:25], v[24:25], -0.5, v[22:23]
	v_fma_f64 v[26:27], v[26:27], -0.5, v[22:23]
	v_add_f64_e32 v[22:23], v[22:23], v[50:51]
	v_fma_f64 v[28:29], v[28:29], -0.5, v[11:12]
	v_add_f64_e64 v[110:111], v[32:33], -v[36:37]
	v_add_f64_e32 v[56:57], v[34:35], v[38:39]
	v_add_f64_e32 v[68:69], v[30:31], v[48:49]
	;; [unrolled: 1-line block ×4, first 2 shown]
	v_fma_f64 v[44:45], v[44:45], -0.5, v[11:12]
	v_add_f64_e32 v[11:12], v[11:12], v[9:10]
	v_add_f64_e64 v[9:10], v[13:14], -v[9:10]
	v_add_f64_e64 v[50:51], v[32:33], -v[42:43]
	;; [unrolled: 1-line block ×5, first 2 shown]
	v_add_f64_e32 v[36:37], v[104:105], v[36:37]
	v_add_f64_e64 v[112:113], v[42:43], -v[40:41]
	v_add_f64_e64 v[114:115], v[40:41], -v[42:43]
	v_fma_f64 v[92:93], v[52:53], s[8:9], v[24:25]
	v_fma_f64 v[94:95], v[46:47], s[10:11], v[26:27]
	v_fma_f64 v[26:27], v[46:47], s[8:9], v[26:27]
	v_fma_f64 v[24:25], v[52:53], s[10:11], v[24:25]
	v_add_f64_e32 v[22:23], v[22:23], v[54:55]
	v_fma_f64 v[56:57], v[56:57], -0.5, v[72:73]
	v_fma_f64 v[68:69], v[68:69], -0.5, v[72:73]
	;; [unrolled: 1-line block ×4, first 2 shown]
	v_add_f64_e32 v[78:79], v[80:81], v[82:83]
	v_add_f64_e32 v[80:81], v[84:85], v[86:87]
	v_fma_f64 v[82:83], v[88:89], s[10:11], v[28:29]
	v_fma_f64 v[28:29], v[88:89], s[8:9], v[28:29]
	v_fma_f64 v[84:85], v[90:91], s[8:9], v[44:45]
	v_fma_f64 v[44:45], v[90:91], s[10:11], v[44:45]
	v_add_f64_e64 v[72:73], v[34:35], -v[38:39]
	v_add_f64_e32 v[11:12], v[11:12], v[13:14]
	v_add_f64_e32 v[13:14], v[96:97], v[98:99]
	;; [unrolled: 1-line block ×5, first 2 shown]
	v_fma_f64 v[86:87], v[46:47], s[14:15], v[92:93]
	v_fma_f64 v[92:93], v[52:53], s[14:15], v[94:95]
	;; [unrolled: 1-line block ×4, first 2 shown]
	v_add_f64_e64 v[46:47], v[30:31], -v[34:35]
	v_add_f64_e64 v[30:31], v[34:35], -v[30:31]
	v_add_f64_e32 v[34:35], v[102:103], v[34:35]
	v_add_f64_e64 v[52:53], v[48:49], -v[38:39]
	v_add_f64_e64 v[94:95], v[38:39], -v[48:49]
	v_fma_f64 v[54:55], v[50:51], s[10:11], v[56:57]
	v_fma_f64 v[56:57], v[50:51], s[8:9], v[56:57]
	;; [unrolled: 1-line block ×12, first 2 shown]
	v_add_f64_e32 v[11:12], v[11:12], v[15:16]
	v_add_f64_e32 v[15:16], v[22:23], v[58:59]
	v_add_f64_e32 v[36:37], v[36:37], v[42:43]
	v_fma_f64 v[86:87], v[78:79], s[18:19], v[86:87]
	v_fma_f64 v[88:89], v[80:81], s[18:19], v[92:93]
	;; [unrolled: 1-line block ×4, first 2 shown]
	v_add_f64_e32 v[34:35], v[34:35], v[38:39]
	v_add_f64_e32 v[46:47], v[46:47], v[52:53]
	;; [unrolled: 1-line block ×4, first 2 shown]
	v_fma_f64 v[22:23], v[106:107], s[16:17], v[54:55]
	v_fma_f64 v[38:39], v[106:107], s[14:15], v[56:57]
	;; [unrolled: 1-line block ×12, first 2 shown]
	v_add_f64_e32 v[11:12], v[11:12], v[20:21]
	v_add_f64_e32 v[15:16], v[15:16], v[70:71]
	v_mul_f64_e32 v[44:45], s[16:17], v[86:87]
	v_mul_f64_e32 v[80:81], s[20:21], v[86:87]
	;; [unrolled: 1-line block ×6, first 2 shown]
	s_wait_alu 0xfffe
	v_mul_f64_e32 v[26:27], s[22:23], v[26:27]
	v_mul_f64_e32 v[24:25], s[24:25], v[24:25]
	v_add_f64_e32 v[34:35], v[34:35], v[48:49]
	v_fma_f64 v[48:49], v[46:47], s[18:19], v[22:23]
	v_fma_f64 v[46:47], v[46:47], s[18:19], v[38:39]
	;; [unrolled: 1-line block ×8, first 2 shown]
	v_add_f64_e32 v[22:23], v[36:37], v[15:16]
	v_fma_f64 v[44:45], v[72:73], s[20:21], v[44:45]
	v_fma_f64 v[72:73], v[72:73], s[14:15], v[80:81]
	;; [unrolled: 1-line block ×8, first 2 shown]
	v_add_f64_e32 v[20:21], v[34:35], v[11:12]
	v_add_f64_e64 v[24:25], v[34:35], -v[11:12]
	v_add_f64_e64 v[26:27], v[36:37], -v[15:16]
	v_add_f64_e32 v[28:29], v[48:49], v[44:45]
	v_add_f64_e32 v[30:31], v[54:55], v[72:73]
	;; [unrolled: 1-line block ×8, first 2 shown]
	v_add_f64_e64 v[44:45], v[48:49], -v[44:45]
	v_add_f64_e64 v[13:14], v[46:47], -v[76:77]
	;; [unrolled: 1-line block ×8, first 2 shown]
	v_lshrrev_b32_e32 v52, 2, v63
	s_delay_alu instid0(VALU_DEP_1) | instskip(NEXT) | instid1(VALU_DEP_1)
	v_mul_u32_u24_e32 v52, 40, v52
	v_or_b32_e32 v0, v52, v0
	s_delay_alu instid0(VALU_DEP_1) | instskip(NEXT) | instid1(VALU_DEP_1)
	v_mul_u32_u24_e32 v0, 0xc0, v0
	v_add3_u32 v0, 0, v0, v17
	ds_store_b128 v0, v[20:23]
	ds_store_b128 v0, v[28:31] offset:768
	ds_store_b128 v0, v[32:35] offset:1536
	;; [unrolled: 1-line block ×9, first 2 shown]
	global_wb scope:SCOPE_SE
	s_wait_dscnt 0x0
	s_barrier_signal -1
	s_barrier_wait -1
	global_inv scope:SCOPE_SE
	ds_load_b128 v[29:32], v18
	ds_load_b128 v[37:40], v18 offset:7680
	ds_load_b128 v[53:56], v18 offset:15360
	;; [unrolled: 1-line block ×5, first 2 shown]
	ds_load_b128 v[33:36], v19
	ds_load_b128 v[45:48], v18 offset:26112
	s_and_saveexec_b32 s1, s0
	s_cbranch_execz .LBB0_40
; %bb.39:
	v_add_nc_u32_e32 v0, 0xc00, v19
	ds_load_b128 v[13:16], v18 offset:13824
	ds_load_b128 v[5:8], v18 offset:21504
	ds_load_b128 v[9:12], v0
	ds_load_b128 v[1:4], v18 offset:29184
.LBB0_40:
	s_wait_alu 0xfffe
	s_or_b32 exec_lo, exec_lo, s1
	v_mul_lo_u16 v0, v66, 13
	s_delay_alu instid0(VALU_DEP_1) | instskip(NEXT) | instid1(VALU_DEP_1)
	v_lshrrev_b16 v68, 9, v0
	v_mul_lo_u16 v0, v68, 40
	s_delay_alu instid0(VALU_DEP_1) | instskip(NEXT) | instid1(VALU_DEP_1)
	v_sub_nc_u16 v0, v66, v0
	v_mul_lo_u16 v0, v0, 3
	s_delay_alu instid0(VALU_DEP_1) | instskip(NEXT) | instid1(VALU_DEP_1)
	v_and_b32_e32 v0, 0xff, v0
	v_lshlrev_b32_e32 v0, 4, v0
	s_clause 0x2
	global_load_b128 v[17:20], v0, s[12:13] offset:608
	global_load_b128 v[21:24], v0, s[12:13] offset:592
	;; [unrolled: 1-line block ×3, first 2 shown]
	v_add_nc_u32_e32 v0, s6, v61
	s_and_saveexec_b32 s1, s5
	s_cbranch_execnz .LBB0_43
; %bb.41:
	s_wait_alu 0xfffe
	s_or_b32 exec_lo, exec_lo, s1
	s_and_saveexec_b32 s0, vcc_lo
	s_cbranch_execnz .LBB0_44
.LBB0_42:
	s_nop 0
	s_sendmsg sendmsg(MSG_DEALLOC_VGPRS)
	s_endpgm
.LBB0_43:
	v_mul_lo_u16 v61, v67, 13
	v_mul_u32_u24_e32 v69, 3, v63
	s_delay_alu instid0(VALU_DEP_2) | instskip(NEXT) | instid1(VALU_DEP_2)
	v_lshrrev_b16 v105, 9, v61
	v_lshlrev_b32_e32 v85, 4, v69
	s_delay_alu instid0(VALU_DEP_2) | instskip(NEXT) | instid1(VALU_DEP_1)
	v_mul_lo_u16 v61, v105, 40
	v_sub_nc_u16 v61, v67, v61
	s_delay_alu instid0(VALU_DEP_1) | instskip(NEXT) | instid1(VALU_DEP_1)
	v_mul_lo_u16 v61, v61, 3
	v_and_b32_e32 v61, 0xff, v61
	s_delay_alu instid0(VALU_DEP_1)
	v_lshlrev_b32_e32 v61, 4, v61
	s_clause 0x5
	global_load_b128 v[69:72], v85, s[12:13] offset:592
	global_load_b128 v[73:76], v85, s[12:13] offset:608
	;; [unrolled: 1-line block ×6, first 2 shown]
	s_wait_dscnt 0x0
	v_mad_co_u64_u32 v[61:62], null, s4, v62, v[0:1]
	s_wait_loadcnt 0x5
	v_mul_f64_e32 v[93:94], v[53:54], v[71:72]
	s_wait_loadcnt 0x4
	v_mul_f64_e32 v[95:96], v[59:60], v[75:76]
	v_mul_f64_e32 v[71:72], v[55:56], v[71:72]
	;; [unrolled: 1-line block ×3, first 2 shown]
	s_wait_loadcnt 0x3
	v_mul_f64_e32 v[97:98], v[41:42], v[79:80]
	s_wait_loadcnt 0x1
	v_mul_f64_e32 v[101:102], v[37:38], v[87:88]
	v_mul_f64_e32 v[87:88], v[39:40], v[87:88]
	v_mul_f64_e32 v[99:100], v[51:52], v[83:84]
	v_mul_f64_e32 v[83:84], v[49:50], v[83:84]
	s_wait_loadcnt 0x0
	v_mul_f64_e32 v[103:104], v[45:46], v[91:92]
	v_mul_f64_e32 v[79:80], v[43:44], v[79:80]
	;; [unrolled: 1-line block ×3, first 2 shown]
	v_fma_f64 v[55:56], v[55:56], v[69:70], -v[93:94]
	v_fma_f64 v[57:58], v[57:58], v[73:74], v[95:96]
	v_fma_f64 v[53:54], v[53:54], v[69:70], v[71:72]
	v_fma_f64 v[59:60], v[59:60], v[73:74], -v[75:76]
	v_fma_f64 v[43:44], v[43:44], v[77:78], -v[97:98]
	;; [unrolled: 1-line block ×3, first 2 shown]
	v_fma_f64 v[37:38], v[37:38], v[85:86], v[87:88]
	v_fma_f64 v[49:50], v[49:50], v[81:82], v[99:100]
	v_fma_f64 v[51:52], v[51:52], v[81:82], -v[83:84]
	v_fma_f64 v[47:48], v[47:48], v[89:90], -v[103:104]
	v_fma_f64 v[41:42], v[41:42], v[77:78], v[79:80]
	v_fma_f64 v[45:46], v[45:46], v[89:90], v[91:92]
	v_mad_co_u64_u32 v[77:78], null, s4, v63, v[0:1]
	v_mov_b32_e32 v78, 0
	s_delay_alu instid0(VALU_DEP_1)
	v_mov_b32_e32 v62, v78
	v_add_f64_e64 v[55:56], v[31:32], -v[55:56]
	v_add_f64_e64 v[69:70], v[29:30], -v[53:54]
	;; [unrolled: 1-line block ×8, first 2 shown]
	v_fma_f64 v[45:46], v[31:32], 2.0, -v[55:56]
	v_fma_f64 v[71:72], v[29:30], 2.0, -v[69:70]
	;; [unrolled: 1-line block ×5, first 2 shown]
	v_add_f64_e64 v[35:36], v[55:56], -v[57:58]
	v_lshlrev_b64_e32 v[57:58], 4, v[61:62]
	v_fma_f64 v[51:52], v[51:52], 2.0, -v[47:48]
	v_fma_f64 v[75:76], v[33:34], 2.0, -v[59:60]
	;; [unrolled: 1-line block ×3, first 2 shown]
	v_add_f64_e64 v[31:32], v[53:54], -v[41:42]
	v_add_f64_e32 v[33:34], v[69:70], v[43:44]
	v_add_f64_e32 v[29:30], v[59:60], v[47:48]
	v_mad_co_u64_u32 v[47:48], null, s4, v64, v[0:1]
	v_mov_b32_e32 v48, v78
	s_delay_alu instid0(VALU_DEP_1)
	v_lshlrev_b64_e32 v[47:48], 4, v[47:48]
	v_add_f64_e64 v[39:40], v[45:46], -v[39:40]
	v_add_f64_e64 v[37:38], v[71:72], -v[37:38]
	;; [unrolled: 1-line block ×3, first 2 shown]
	v_lshlrev_b64_e32 v[51:52], 4, v[77:78]
	v_add_f64_e64 v[41:42], v[75:76], -v[49:50]
	v_mad_co_u64_u32 v[49:50], null, s4, v65, v[0:1]
	v_dual_mov_b32 v50, v78 :: v_dual_and_b32 v65, 0xffff, v105
	s_delay_alu instid0(VALU_DEP_4)
	v_add_co_u32 v63, s0, s2, v51
	s_wait_alu 0xf1ff
	v_add_co_ci_u32_e64 v64, s0, s3, v52, s0
	v_add_co_u32 v79, s0, s2, v57
	v_lshlrev_b64_e32 v[61:62], 4, v[49:50]
	v_mad_u32_u24 v49, 0x78, v65, v67
	s_wait_alu 0xf1ff
	v_add_co_ci_u32_e64 v80, s0, s3, v58, s0
	v_add_co_u32 v81, s0, s2, v47
	s_wait_alu 0xf1ff
	v_add_co_ci_u32_e64 v82, s0, s3, v48, s0
	v_fma_f64 v[47:48], v[53:54], 2.0, -v[31:32]
	v_fma_f64 v[51:52], v[55:56], 2.0, -v[35:36]
	v_mad_co_u64_u32 v[83:84], null, s4, v49, v[0:1]
	v_dual_mov_b32 v84, v78 :: v_dual_add_nc_u32 v65, 40, v49
	v_add_nc_u32_e32 v67, 0x50, v49
	v_add_nc_u32_e32 v77, 0x78, v49
	v_fma_f64 v[49:50], v[69:70], 2.0, -v[33:34]
	s_delay_alu instid0(VALU_DEP_4)
	v_mad_co_u64_u32 v[69:70], null, s4, v65, v[0:1]
	v_mov_b32_e32 v70, v78
	v_add_co_u32 v61, s0, s2, v61
	v_fma_f64 v[55:56], v[45:46], 2.0, -v[39:40]
	v_fma_f64 v[53:54], v[71:72], 2.0, -v[37:38]
	;; [unrolled: 1-line block ×4, first 2 shown]
	v_mad_co_u64_u32 v[71:72], null, s4, v67, v[0:1]
	v_mov_b32_e32 v72, v78
	v_fma_f64 v[57:58], v[75:76], 2.0, -v[41:42]
	v_lshlrev_b64_e32 v[75:76], 4, v[83:84]
	v_mad_co_u64_u32 v[73:74], null, s4, v77, v[0:1]
	v_lshlrev_b64_e32 v[69:70], 4, v[69:70]
	v_mov_b32_e32 v74, v78
	s_wait_alu 0xf1ff
	v_add_co_ci_u32_e64 v62, s0, s3, v62, s0
	v_lshlrev_b64_e32 v[71:72], 4, v[71:72]
	v_add_co_u32 v75, s0, s2, v75
	s_wait_alu 0xf1ff
	v_add_co_ci_u32_e64 v76, s0, s3, v76, s0
	v_lshlrev_b64_e32 v[73:74], 4, v[73:74]
	v_add_co_u32 v69, s0, s2, v69
	s_wait_alu 0xf1ff
	v_add_co_ci_u32_e64 v70, s0, s3, v70, s0
	v_add_co_u32 v71, s0, s2, v71
	s_wait_alu 0xf1ff
	v_add_co_ci_u32_e64 v72, s0, s3, v72, s0
	v_add_co_u32 v73, s0, s2, v73
	s_wait_alu 0xf1ff
	v_add_co_ci_u32_e64 v74, s0, s3, v74, s0
	s_clause 0x7
	global_store_b128 v[63:64], v[53:56], off
	global_store_b128 v[79:80], v[49:52], off
	;; [unrolled: 1-line block ×8, first 2 shown]
	s_wait_alu 0xfffe
	s_or_b32 exec_lo, exec_lo, s1
	s_and_saveexec_b32 s0, vcc_lo
	s_cbranch_execz .LBB0_42
.LBB0_44:
	s_wait_loadcnt_dscnt 0x3
	v_mul_f64_e32 v[29:30], v[15:16], v[27:28]
	v_mul_f64_e32 v[27:28], v[13:14], v[27:28]
	s_wait_dscnt 0x2
	v_mul_f64_e32 v[31:32], v[7:8], v[23:24]
	v_mul_f64_e32 v[23:24], v[5:6], v[23:24]
	s_wait_dscnt 0x0
	v_mul_f64_e32 v[33:34], v[3:4], v[19:20]
	v_mul_f64_e32 v[19:20], v[1:2], v[19:20]
	v_fma_f64 v[13:14], v[13:14], v[25:26], v[29:30]
	v_fma_f64 v[15:16], v[15:16], v[25:26], -v[27:28]
	v_fma_f64 v[5:6], v[5:6], v[21:22], v[31:32]
	v_fma_f64 v[7:8], v[7:8], v[21:22], -v[23:24]
	v_fma_f64 v[1:2], v[1:2], v[17:18], v[33:34]
	v_fma_f64 v[3:4], v[3:4], v[17:18], -v[19:20]
	s_delay_alu instid0(VALU_DEP_4) | instskip(NEXT) | instid1(VALU_DEP_4)
	v_add_f64_e64 v[17:18], v[9:10], -v[5:6]
	v_add_f64_e64 v[19:20], v[11:12], -v[7:8]
	s_delay_alu instid0(VALU_DEP_4) | instskip(NEXT) | instid1(VALU_DEP_4)
	v_add_f64_e64 v[5:6], v[13:14], -v[1:2]
	v_add_f64_e64 v[1:2], v[15:16], -v[3:4]
	s_delay_alu instid0(VALU_DEP_4) | instskip(NEXT) | instid1(VALU_DEP_4)
	v_fma_f64 v[21:22], v[9:10], 2.0, -v[17:18]
	v_fma_f64 v[23:24], v[11:12], 2.0, -v[19:20]
	s_delay_alu instid0(VALU_DEP_4) | instskip(NEXT) | instid1(VALU_DEP_4)
	v_fma_f64 v[7:8], v[13:14], 2.0, -v[5:6]
	v_fma_f64 v[9:10], v[15:16], 2.0, -v[1:2]
	v_add_f64_e64 v[3:4], v[19:20], -v[5:6]
	v_add_f64_e32 v[1:2], v[17:18], v[1:2]
	s_delay_alu instid0(VALU_DEP_4) | instskip(NEXT) | instid1(VALU_DEP_4)
	v_add_f64_e64 v[5:6], v[21:22], -v[7:8]
	v_add_f64_e64 v[7:8], v[23:24], -v[9:10]
	v_and_b32_e32 v9, 0xffff, v68
	v_fma_f64 v[11:12], v[19:20], 2.0, -v[3:4]
	s_delay_alu instid0(VALU_DEP_2) | instskip(SKIP_1) | instid1(VALU_DEP_2)
	v_mad_u32_u24 v25, 0x78, v9, v66
	v_fma_f64 v[9:10], v[17:18], 2.0, -v[1:2]
	v_mad_co_u64_u32 v[17:18], null, s4, v25, v[0:1]
	v_dual_mov_b32 v18, 0 :: v_dual_add_nc_u32 v19, 40, v25
	s_delay_alu instid0(VALU_DEP_1) | instskip(NEXT) | instid1(VALU_DEP_2)
	v_mad_co_u64_u32 v[19:20], null, s4, v19, v[0:1]
	v_mov_b32_e32 v20, v18
	s_delay_alu instid0(VALU_DEP_1) | instskip(SKIP_4) | instid1(VALU_DEP_2)
	v_lshlrev_b64_e32 v[19:20], 4, v[19:20]
	v_fma_f64 v[13:14], v[21:22], 2.0, -v[5:6]
	v_fma_f64 v[15:16], v[23:24], 2.0, -v[7:8]
	v_add_nc_u32_e32 v21, 0x50, v25
	v_add_nc_u32_e32 v23, 0x78, v25
	v_mad_co_u64_u32 v[21:22], null, s4, v21, v[0:1]
	s_delay_alu instid0(VALU_DEP_2) | instskip(SKIP_3) | instid1(VALU_DEP_2)
	v_mad_co_u64_u32 v[23:24], null, s4, v23, v[0:1]
	v_mov_b32_e32 v24, v18
	v_mov_b32_e32 v22, v18
	v_lshlrev_b64_e32 v[17:18], 4, v[17:18]
	v_lshlrev_b64_e32 v[21:22], 4, v[21:22]
	s_delay_alu instid0(VALU_DEP_4) | instskip(NEXT) | instid1(VALU_DEP_3)
	v_lshlrev_b64_e32 v[23:24], 4, v[23:24]
	v_add_co_u32 v17, vcc_lo, s2, v17
	s_wait_alu 0xfffd
	s_delay_alu instid0(VALU_DEP_4)
	v_add_co_ci_u32_e32 v18, vcc_lo, s3, v18, vcc_lo
	v_add_co_u32 v19, vcc_lo, s2, v19
	s_wait_alu 0xfffd
	v_add_co_ci_u32_e32 v20, vcc_lo, s3, v20, vcc_lo
	v_add_co_u32 v21, vcc_lo, s2, v21
	s_wait_alu 0xfffd
	;; [unrolled: 3-line block ×3, first 2 shown]
	v_add_co_ci_u32_e32 v24, vcc_lo, s3, v24, vcc_lo
	s_clause 0x3
	global_store_b128 v[17:18], v[13:16], off
	global_store_b128 v[19:20], v[9:12], off
	;; [unrolled: 1-line block ×4, first 2 shown]
	s_nop 0
	s_sendmsg sendmsg(MSG_DEALLOC_VGPRS)
	s_endpgm
	.section	.rodata,"a",@progbits
	.p2align	6, 0x0
	.amdhsa_kernel fft_rtc_back_len160_factors_4_10_4_wgs_192_tpt_16_dp_ip_CI_sbcc_dirReg_intrinsicReadWrite
		.amdhsa_group_segment_fixed_size 0
		.amdhsa_private_segment_fixed_size 0
		.amdhsa_kernarg_size 96
		.amdhsa_user_sgpr_count 2
		.amdhsa_user_sgpr_dispatch_ptr 0
		.amdhsa_user_sgpr_queue_ptr 0
		.amdhsa_user_sgpr_kernarg_segment_ptr 1
		.amdhsa_user_sgpr_dispatch_id 0
		.amdhsa_user_sgpr_private_segment_size 0
		.amdhsa_wavefront_size32 1
		.amdhsa_uses_dynamic_stack 0
		.amdhsa_enable_private_segment 0
		.amdhsa_system_sgpr_workgroup_id_x 1
		.amdhsa_system_sgpr_workgroup_id_y 0
		.amdhsa_system_sgpr_workgroup_id_z 0
		.amdhsa_system_sgpr_workgroup_info 0
		.amdhsa_system_vgpr_workitem_id 0
		.amdhsa_next_free_vgpr 116
		.amdhsa_next_free_sgpr 48
		.amdhsa_reserve_vcc 1
		.amdhsa_float_round_mode_32 0
		.amdhsa_float_round_mode_16_64 0
		.amdhsa_float_denorm_mode_32 3
		.amdhsa_float_denorm_mode_16_64 3
		.amdhsa_fp16_overflow 0
		.amdhsa_workgroup_processor_mode 1
		.amdhsa_memory_ordered 1
		.amdhsa_forward_progress 0
		.amdhsa_round_robin_scheduling 0
		.amdhsa_exception_fp_ieee_invalid_op 0
		.amdhsa_exception_fp_denorm_src 0
		.amdhsa_exception_fp_ieee_div_zero 0
		.amdhsa_exception_fp_ieee_overflow 0
		.amdhsa_exception_fp_ieee_underflow 0
		.amdhsa_exception_fp_ieee_inexact 0
		.amdhsa_exception_int_div_zero 0
	.end_amdhsa_kernel
	.text
.Lfunc_end0:
	.size	fft_rtc_back_len160_factors_4_10_4_wgs_192_tpt_16_dp_ip_CI_sbcc_dirReg_intrinsicReadWrite, .Lfunc_end0-fft_rtc_back_len160_factors_4_10_4_wgs_192_tpt_16_dp_ip_CI_sbcc_dirReg_intrinsicReadWrite
                                        ; -- End function
	.section	.AMDGPU.csdata,"",@progbits
; Kernel info:
; codeLenInByte = 7172
; NumSgprs: 50
; NumVgprs: 116
; ScratchSize: 0
; MemoryBound: 0
; FloatMode: 240
; IeeeMode: 1
; LDSByteSize: 0 bytes/workgroup (compile time only)
; SGPRBlocks: 6
; VGPRBlocks: 14
; NumSGPRsForWavesPerEU: 50
; NumVGPRsForWavesPerEU: 116
; Occupancy: 12
; WaveLimiterHint : 1
; COMPUTE_PGM_RSRC2:SCRATCH_EN: 0
; COMPUTE_PGM_RSRC2:USER_SGPR: 2
; COMPUTE_PGM_RSRC2:TRAP_HANDLER: 0
; COMPUTE_PGM_RSRC2:TGID_X_EN: 1
; COMPUTE_PGM_RSRC2:TGID_Y_EN: 0
; COMPUTE_PGM_RSRC2:TGID_Z_EN: 0
; COMPUTE_PGM_RSRC2:TIDIG_COMP_CNT: 0
	.text
	.p2alignl 7, 3214868480
	.fill 96, 4, 3214868480
	.type	__hip_cuid_dad5076d523ba9fb,@object ; @__hip_cuid_dad5076d523ba9fb
	.section	.bss,"aw",@nobits
	.globl	__hip_cuid_dad5076d523ba9fb
__hip_cuid_dad5076d523ba9fb:
	.byte	0                               ; 0x0
	.size	__hip_cuid_dad5076d523ba9fb, 1

	.ident	"AMD clang version 19.0.0git (https://github.com/RadeonOpenCompute/llvm-project roc-6.4.0 25133 c7fe45cf4b819c5991fe208aaa96edf142730f1d)"
	.section	".note.GNU-stack","",@progbits
	.addrsig
	.addrsig_sym __hip_cuid_dad5076d523ba9fb
	.amdgpu_metadata
---
amdhsa.kernels:
  - .args:
      - .actual_access:  read_only
        .address_space:  global
        .offset:         0
        .size:           8
        .value_kind:     global_buffer
      - .address_space:  global
        .offset:         8
        .size:           8
        .value_kind:     global_buffer
      - .offset:         16
        .size:           8
        .value_kind:     by_value
      - .actual_access:  read_only
        .address_space:  global
        .offset:         24
        .size:           8
        .value_kind:     global_buffer
      - .actual_access:  read_only
        .address_space:  global
        .offset:         32
        .size:           8
        .value_kind:     global_buffer
      - .offset:         40
        .size:           8
        .value_kind:     by_value
      - .actual_access:  read_only
        .address_space:  global
        .offset:         48
        .size:           8
        .value_kind:     global_buffer
      - .actual_access:  read_only
        .address_space:  global
        .offset:         56
        .size:           8
        .value_kind:     global_buffer
      - .offset:         64
        .size:           4
        .value_kind:     by_value
      - .actual_access:  read_only
        .address_space:  global
        .offset:         72
        .size:           8
        .value_kind:     global_buffer
      - .actual_access:  read_only
        .address_space:  global
        .offset:         80
        .size:           8
        .value_kind:     global_buffer
      - .address_space:  global
        .offset:         88
        .size:           8
        .value_kind:     global_buffer
    .group_segment_fixed_size: 0
    .kernarg_segment_align: 8
    .kernarg_segment_size: 96
    .language:       OpenCL C
    .language_version:
      - 2
      - 0
    .max_flat_workgroup_size: 192
    .name:           fft_rtc_back_len160_factors_4_10_4_wgs_192_tpt_16_dp_ip_CI_sbcc_dirReg_intrinsicReadWrite
    .private_segment_fixed_size: 0
    .sgpr_count:     50
    .sgpr_spill_count: 0
    .symbol:         fft_rtc_back_len160_factors_4_10_4_wgs_192_tpt_16_dp_ip_CI_sbcc_dirReg_intrinsicReadWrite.kd
    .uniform_work_group_size: 1
    .uses_dynamic_stack: false
    .vgpr_count:     116
    .vgpr_spill_count: 0
    .wavefront_size: 32
    .workgroup_processor_mode: 1
amdhsa.target:   amdgcn-amd-amdhsa--gfx1201
amdhsa.version:
  - 1
  - 2
...

	.end_amdgpu_metadata
